;; amdgpu-corpus repo=ROCm/rocm-examples kind=compiled arch=gfx942 opt=O3
	.text
	.amdgcn_target "amdgcn-amd-amdhsa--gfx942"
	.amdhsa_code_object_version 6
	.protected	_Z21float_to_fp8_to_floatPf26__hip_fp8_interpretation_t18__hip_saturation_tS_m ; -- Begin function _Z21float_to_fp8_to_floatPf26__hip_fp8_interpretation_t18__hip_saturation_tS_m
	.globl	_Z21float_to_fp8_to_floatPf26__hip_fp8_interpretation_t18__hip_saturation_tS_m
	.p2align	8
	.type	_Z21float_to_fp8_to_floatPf26__hip_fp8_interpretation_t18__hip_saturation_tS_m,@function
_Z21float_to_fp8_to_floatPf26__hip_fp8_interpretation_t18__hip_saturation_tS_m: ; @_Z21float_to_fp8_to_floatPf26__hip_fp8_interpretation_t18__hip_saturation_tS_m
; %bb.0:
	s_load_dwordx4 s[4:7], s[0:1], 0x10
	v_mov_b32_e32 v1, 0
	s_waitcnt lgkmcnt(0)
	v_cmp_gt_u64_e32 vcc, s[6:7], v[0:1]
	s_and_saveexec_b64 s[2:3], vcc
	s_cbranch_execz .LBB0_18
; %bb.1:
	s_load_dwordx2 s[2:3], s[0:1], 0x8
	s_waitcnt lgkmcnt(0)
	s_add_i32 s6, s2, -4
	s_cmp_gt_u32 s6, -3
	s_mov_b64 s[6:7], -1
	s_cbranch_scc0 .LBB0_17
; %bb.2:
	s_load_dwordx2 s[0:1], s[0:1], 0x0
	v_lshlrev_b32_e32 v0, 2, v0
	s_cmp_lg_u32 s3, 1
	s_waitcnt lgkmcnt(0)
	global_load_dword v1, v0, s[0:1]
	s_cbranch_scc1 .LBB0_12
; %bb.3:
	s_movk_i32 s0, 0x1f8
	s_cmp_lg_u32 s2, 2
	s_waitcnt vmcnt(0)
	v_cmp_class_f32_e64 s[0:1], v1, s0
	s_cbranch_scc0 .LBB0_7
; %bb.4:
	v_mov_b32_e32 v2, v1
	s_and_saveexec_b64 s[6:7], s[0:1]
; %bb.5:
	s_mov_b32 s3, 0x47600000
	v_mov_b32_e32 v2, 0xc7600000
	v_med3_f32 v2, v1, s3, v2
; %bb.6:
	s_or_b64 exec, exec, s[6:7]
	s_cbranch_execz .LBB0_8
	s_branch .LBB0_11
.LBB0_7:
                                        ; implicit-def: $vgpr2
	s_andn2_b64 vcc, exec, s[6:7]
	s_cbranch_vccnz .LBB0_11
.LBB0_8:
	s_and_saveexec_b64 s[6:7], s[0:1]
; %bb.9:
	s_mov_b32 s0, 0x43700000
	v_mov_b32_e32 v2, 0xc3700000
	v_med3_f32 v1, v1, s0, v2
; %bb.10:
	s_or_b64 exec, exec, s[6:7]
	v_mov_b32_e32 v2, v1
.LBB0_11:
	v_mov_b32_e32 v1, v2
.LBB0_12:
	s_bitcmp1_b32 s2, 0
	s_cselect_b64 s[0:1], -1, 0
	s_and_b64 vcc, exec, s[0:1]
	s_cbranch_vccz .LBB0_14
; %bb.13:
	v_mov_b32_e32 v2, 0
	s_waitcnt vmcnt(0)
	v_cvt_pk_bf8_f32 v2, v1, v1
	s_cbranch_execz .LBB0_15
	s_branch .LBB0_16
.LBB0_14:
                                        ; implicit-def: $vgpr2
.LBB0_15:
	v_mov_b32_e32 v2, 0
	s_waitcnt vmcnt(0)
	v_cvt_pk_fp8_f32 v2, v1, v1
.LBB0_16:
	s_waitcnt vmcnt(0)
	v_cvt_f32_ubyte0_e32 v1, v2
	s_mov_b64 s[6:7], 0
	global_store_dword v0, v1, s[4:5]
.LBB0_17:
	s_and_b64 vcc, exec, s[6:7]
	s_cbranch_vccnz .LBB0_19
.LBB0_18:
	s_endpgm
.LBB0_19:
	s_trap 2
	; divergent unreachable
	s_endpgm
	.section	.rodata,"a",@progbits
	.p2align	6, 0x0
	.amdhsa_kernel _Z21float_to_fp8_to_floatPf26__hip_fp8_interpretation_t18__hip_saturation_tS_m
		.amdhsa_group_segment_fixed_size 0
		.amdhsa_private_segment_fixed_size 0
		.amdhsa_kernarg_size 32
		.amdhsa_user_sgpr_count 2
		.amdhsa_user_sgpr_dispatch_ptr 0
		.amdhsa_user_sgpr_queue_ptr 0
		.amdhsa_user_sgpr_kernarg_segment_ptr 1
		.amdhsa_user_sgpr_dispatch_id 0
		.amdhsa_user_sgpr_kernarg_preload_length 0
		.amdhsa_user_sgpr_kernarg_preload_offset 0
		.amdhsa_user_sgpr_private_segment_size 0
		.amdhsa_uses_dynamic_stack 0
		.amdhsa_enable_private_segment 0
		.amdhsa_system_sgpr_workgroup_id_x 1
		.amdhsa_system_sgpr_workgroup_id_y 0
		.amdhsa_system_sgpr_workgroup_id_z 0
		.amdhsa_system_sgpr_workgroup_info 0
		.amdhsa_system_vgpr_workitem_id 0
		.amdhsa_next_free_vgpr 3
		.amdhsa_next_free_sgpr 8
		.amdhsa_accum_offset 4
		.amdhsa_reserve_vcc 1
		.amdhsa_float_round_mode_32 0
		.amdhsa_float_round_mode_16_64 0
		.amdhsa_float_denorm_mode_32 3
		.amdhsa_float_denorm_mode_16_64 3
		.amdhsa_dx10_clamp 1
		.amdhsa_ieee_mode 1
		.amdhsa_fp16_overflow 0
		.amdhsa_tg_split 0
		.amdhsa_exception_fp_ieee_invalid_op 0
		.amdhsa_exception_fp_denorm_src 0
		.amdhsa_exception_fp_ieee_div_zero 0
		.amdhsa_exception_fp_ieee_overflow 0
		.amdhsa_exception_fp_ieee_underflow 0
		.amdhsa_exception_fp_ieee_inexact 0
		.amdhsa_exception_int_div_zero 0
	.end_amdhsa_kernel
	.text
.Lfunc_end0:
	.size	_Z21float_to_fp8_to_floatPf26__hip_fp8_interpretation_t18__hip_saturation_tS_m, .Lfunc_end0-_Z21float_to_fp8_to_floatPf26__hip_fp8_interpretation_t18__hip_saturation_tS_m
                                        ; -- End function
	.section	.AMDGPU.csdata,"",@progbits
; Kernel info:
; codeLenInByte = 300
; NumSgprs: 14
; NumVgprs: 3
; NumAgprs: 0
; TotalNumVgprs: 3
; ScratchSize: 0
; MemoryBound: 0
; FloatMode: 240
; IeeeMode: 1
; LDSByteSize: 0 bytes/workgroup (compile time only)
; SGPRBlocks: 1
; VGPRBlocks: 0
; NumSGPRsForWavesPerEU: 14
; NumVGPRsForWavesPerEU: 3
; AccumOffset: 4
; Occupancy: 8
; WaveLimiterHint : 0
; COMPUTE_PGM_RSRC2:SCRATCH_EN: 0
; COMPUTE_PGM_RSRC2:USER_SGPR: 2
; COMPUTE_PGM_RSRC2:TRAP_HANDLER: 0
; COMPUTE_PGM_RSRC2:TGID_X_EN: 1
; COMPUTE_PGM_RSRC2:TGID_Y_EN: 0
; COMPUTE_PGM_RSRC2:TGID_Z_EN: 0
; COMPUTE_PGM_RSRC2:TIDIG_COMP_CNT: 0
; COMPUTE_PGM_RSRC3_GFX90A:ACCUM_OFFSET: 0
; COMPUTE_PGM_RSRC3_GFX90A:TG_SPLIT: 0
	.text
	.p2alignl 6, 3212836864
	.fill 256, 4, 3212836864
	.type	__hip_cuid_fac9e22fbccc10db,@object ; @__hip_cuid_fac9e22fbccc10db
	.section	.bss,"aw",@nobits
	.globl	__hip_cuid_fac9e22fbccc10db
__hip_cuid_fac9e22fbccc10db:
	.byte	0                               ; 0x0
	.size	__hip_cuid_fac9e22fbccc10db, 1

	.ident	"AMD clang version 19.0.0git (https://github.com/RadeonOpenCompute/llvm-project roc-6.4.0 25133 c7fe45cf4b819c5991fe208aaa96edf142730f1d)"
	.section	".note.GNU-stack","",@progbits
	.addrsig
	.addrsig_sym __hip_cuid_fac9e22fbccc10db
	.amdgpu_metadata
---
amdhsa.kernels:
  - .agpr_count:     0
    .args:
      - .address_space:  global
        .offset:         0
        .size:           8
        .value_kind:     global_buffer
      - .offset:         8
        .size:           4
        .value_kind:     by_value
      - .offset:         12
        .size:           4
        .value_kind:     by_value
      - .address_space:  global
        .offset:         16
        .size:           8
        .value_kind:     global_buffer
      - .offset:         24
        .size:           8
        .value_kind:     by_value
    .group_segment_fixed_size: 0
    .kernarg_segment_align: 8
    .kernarg_segment_size: 32
    .language:       OpenCL C
    .language_version:
      - 2
      - 0
    .max_flat_workgroup_size: 1024
    .name:           _Z21float_to_fp8_to_floatPf26__hip_fp8_interpretation_t18__hip_saturation_tS_m
    .private_segment_fixed_size: 0
    .sgpr_count:     14
    .sgpr_spill_count: 0
    .symbol:         _Z21float_to_fp8_to_floatPf26__hip_fp8_interpretation_t18__hip_saturation_tS_m.kd
    .uniform_work_group_size: 1
    .uses_dynamic_stack: false
    .vgpr_count:     3
    .vgpr_spill_count: 0
    .wavefront_size: 64
amdhsa.target:   amdgcn-amd-amdhsa--gfx942
amdhsa.version:
  - 1
  - 2
...

	.end_amdgpu_metadata
